;; amdgpu-corpus repo=ROCm/rocFFT kind=compiled arch=gfx1030 opt=O3
	.text
	.amdgcn_target "amdgcn-amd-amdhsa--gfx1030"
	.amdhsa_code_object_version 6
	.protected	bluestein_single_back_len70_dim1_half_op_CI_CI ; -- Begin function bluestein_single_back_len70_dim1_half_op_CI_CI
	.globl	bluestein_single_back_len70_dim1_half_op_CI_CI
	.p2align	8
	.type	bluestein_single_back_len70_dim1_half_op_CI_CI,@function
bluestein_single_back_len70_dim1_half_op_CI_CI: ; @bluestein_single_back_len70_dim1_half_op_CI_CI
; %bb.0:
	s_load_dwordx4 s[8:11], s[4:5], 0x28
	v_mul_u32_u24_e32 v1, 0x124a, v0
	s_mov_b32 s0, exec_lo
	v_lshrrev_b32_e32 v1, 16, v1
	v_mad_u64_u32 v[10:11], null, s6, 18, v[1:2]
	v_mov_b32_e32 v11, 0
	s_waitcnt lgkmcnt(0)
	v_cmpx_gt_u64_e64 s[8:9], v[10:11]
	s_cbranch_execz .LBB0_23
; %bb.1:
	s_clause 0x1
	s_load_dwordx4 s[0:3], s[4:5], 0x18
	s_load_dwordx2 s[16:17], s[4:5], 0x0
	v_mul_lo_u16 v1, v1, 14
	v_sub_nc_u16 v7, v0, v1
	v_and_b32_e32 v22, 0xffff, v7
	v_lshlrev_b32_e32 v27, 2, v22
	s_waitcnt lgkmcnt(0)
	s_load_dwordx4 s[12:15], s[0:1], 0x0
	global_load_dword v24, v27, s[16:17]
	s_waitcnt lgkmcnt(0)
	v_mad_u64_u32 v[0:1], null, s14, v10, 0
	v_mad_u64_u32 v[2:3], null, s12, v22, 0
	s_mul_i32 s1, s13, 35
	s_mul_hi_u32 s7, s12, 35
	s_mul_i32 s0, s12, 35
	s_mul_hi_u32 s9, s12, 0xffffffeb
	s_add_i32 s1, s7, s1
	s_mul_i32 s8, s13, 0xffffffeb
	v_mad_u64_u32 v[4:5], null, s15, v10, v[1:2]
	s_mul_i32 s6, s12, 0xffffffeb
	s_sub_i32 s7, s9, s12
	s_add_i32 s7, s7, s8
	v_mad_u64_u32 v[5:6], null, s13, v22, v[3:4]
	v_mov_b32_e32 v1, v4
	s_lshl_b64 s[12:13], s[0:1], 2
	s_lshl_b64 s[0:1], s[6:7], 2
	v_lshlrev_b64 v[0:1], 2, v[0:1]
	v_mov_b32_e32 v3, v5
	v_add_co_u32 v0, vcc_lo, s10, v0
	v_lshlrev_b64 v[2:3], 2, v[2:3]
	v_add_co_ci_u32_e32 v1, vcc_lo, s11, v1, vcc_lo
	v_add_co_u32 v0, vcc_lo, v0, v2
	v_add_co_ci_u32_e32 v1, vcc_lo, v1, v3, vcc_lo
	v_add_co_u32 v2, vcc_lo, v0, s12
	global_load_dword v6, v[0:1], off
	v_add_co_ci_u32_e32 v3, vcc_lo, s13, v1, vcc_lo
	v_add_co_u32 v4, vcc_lo, v2, s0
	v_add_co_ci_u32_e32 v5, vcc_lo, s1, v3, vcc_lo
	v_add_co_u32 v0, vcc_lo, v4, s12
	v_add_co_ci_u32_e32 v1, vcc_lo, s13, v5, vcc_lo
	global_load_dword v2, v[2:3], off
	global_load_dword v25, v27, s[16:17] offset:140
	s_clause 0x1
	global_load_dword v3, v[4:5], off
	global_load_dword v4, v[0:1], off
	s_clause 0x1
	global_load_dword v21, v27, s[16:17] offset:196
	global_load_dword v23, v27, s[16:17] offset:56
	v_mul_hi_u32 v5, 0x38e38e39, v10
	s_load_dwordx2 s[6:7], s[4:5], 0x38
	s_load_dwordx4 s[8:11], s[2:3], 0x0
	v_add_co_u32 v8, s2, s16, v27
	v_add_co_ci_u32_e64 v9, null, s17, 0, s2
	v_cmp_gt_u16_e32 vcc_lo, 7, v7
	v_lshrrev_b32_e32 v5, 2, v5
	v_mul_lo_u32 v5, v5, 18
	v_sub_nc_u32_e32 v5, v10, v5
	v_mul_u32_u24_e32 v5, 0x46, v5
	v_lshlrev_b32_e32 v26, 2, v5
	v_add_nc_u32_e32 v20, v27, v26
	s_waitcnt vmcnt(6)
	v_lshrrev_b32_e32 v11, 16, v6
	v_mul_f16_sdwa v12, v24, v6 dst_sel:DWORD dst_unused:UNUSED_PAD src0_sel:WORD_1 src1_sel:DWORD
	v_mul_f16_sdwa v13, v24, v11 dst_sel:DWORD dst_unused:UNUSED_PAD src0_sel:WORD_1 src1_sel:DWORD
	v_fma_f16 v5, v24, v11, -v12
	s_waitcnt vmcnt(5)
	v_lshrrev_b32_e32 v11, 16, v2
	s_waitcnt vmcnt(4)
	v_mul_f16_sdwa v12, v25, v2 dst_sel:DWORD dst_unused:UNUSED_PAD src0_sel:WORD_1 src1_sel:DWORD
	v_fmac_f16_e32 v13, v24, v6
	s_waitcnt vmcnt(3)
	v_lshrrev_b32_e32 v6, 16, v3
	s_waitcnt vmcnt(2)
	v_lshrrev_b32_e32 v14, 16, v4
	v_mul_f16_sdwa v15, v25, v11 dst_sel:DWORD dst_unused:UNUSED_PAD src0_sel:WORD_1 src1_sel:DWORD
	v_fma_f16 v11, v25, v11, -v12
	s_waitcnt vmcnt(0)
	v_mul_f16_sdwa v12, v23, v3 dst_sel:DWORD dst_unused:UNUSED_PAD src0_sel:WORD_1 src1_sel:DWORD
	v_mul_f16_sdwa v16, v23, v6 dst_sel:DWORD dst_unused:UNUSED_PAD src0_sel:WORD_1 src1_sel:DWORD
	;; [unrolled: 1-line block ×4, first 2 shown]
	v_fmac_f16_e32 v15, v25, v2
	v_fma_f16 v2, v23, v6, -v12
	v_fmac_f16_e32 v16, v23, v3
	v_fmac_f16_e32 v17, v21, v4
	v_fma_f16 v3, v21, v14, -v18
	v_pack_b32_f16 v4, v13, v5
	v_pack_b32_f16 v5, v15, v11
	;; [unrolled: 1-line block ×4, first 2 shown]
	ds_write_b32 v20, v5 offset:140
	ds_write2_b32 v20, v4, v2 offset1:14
	ds_write_b32 v20, v3 offset:196
	s_and_saveexec_b32 s2, vcc_lo
	s_cbranch_execz .LBB0_3
; %bb.2:
	v_add_co_u32 v0, s0, v0, s0
	v_add_co_ci_u32_e64 v1, s0, s1, v1, s0
	v_add_co_u32 v2, s0, v0, s12
	v_add_co_ci_u32_e64 v3, s0, s13, v1, s0
	global_load_dword v0, v[0:1], off
	global_load_dword v1, v[2:3], off
	s_clause 0x1
	global_load_dword v2, v[8:9], off offset:112
	global_load_dword v3, v[8:9], off offset:252
	s_waitcnt vmcnt(3)
	v_lshrrev_b32_e32 v4, 16, v0
	s_waitcnt vmcnt(2)
	v_lshrrev_b32_e32 v5, 16, v1
	s_waitcnt vmcnt(1)
	v_mul_f16_sdwa v6, v2, v0 dst_sel:DWORD dst_unused:UNUSED_PAD src0_sel:WORD_1 src1_sel:DWORD
	s_waitcnt vmcnt(0)
	v_mul_f16_sdwa v12, v3, v1 dst_sel:DWORD dst_unused:UNUSED_PAD src0_sel:WORD_1 src1_sel:DWORD
	v_mul_f16_sdwa v7, v2, v4 dst_sel:DWORD dst_unused:UNUSED_PAD src0_sel:WORD_1 src1_sel:DWORD
	;; [unrolled: 1-line block ×3, first 2 shown]
	v_fma_f16 v4, v2, v4, -v6
	v_fmac_f16_e32 v7, v2, v0
	v_fmac_f16_e32 v11, v3, v1
	v_fma_f16 v0, v3, v5, -v12
	v_pack_b32_f16 v1, v7, v4
	v_pack_b32_f16 v0, v11, v0
	ds_write2_b32 v20, v1, v0 offset0:28 offset1:63
.LBB0_3:
	s_or_b32 exec_lo, exec_lo, s2
	s_load_dwordx2 s[2:3], s[4:5], 0x8
	s_waitcnt lgkmcnt(0)
	s_barrier
	buffer_gl0_inv
	ds_read2_b32 v[2:3], v20 offset1:14
	ds_read2_b32 v[4:5], v20 offset0:35 offset1:49
                                        ; implicit-def: $vgpr0
	s_and_saveexec_b32 s0, vcc_lo
	s_cbranch_execz .LBB0_5
; %bb.4:
	ds_read2_b32 v[0:1], v20 offset0:28 offset1:63
.LBB0_5:
	s_or_b32 exec_lo, exec_lo, s0
	v_lshlrev_b16 v7, 1, v22
	v_add_co_u32 v11, null, v22, 28
	s_waitcnt lgkmcnt(0)
	v_pk_add_f16 v6, v2, v4 neg_lo:[0,1] neg_hi:[0,1]
	v_pk_add_f16 v4, v3, v5 neg_lo:[0,1] neg_hi:[0,1]
	v_and_b32_e32 v7, 0xffff, v7
	v_pk_add_f16 v14, v0, v1 neg_lo:[0,1] neg_hi:[0,1]
	v_lshl_add_u32 v31, v22, 3, v26
	v_pk_fma_f16 v5, v2, 2.0, v6 op_sel_hi:[1,0,1] neg_lo:[0,0,1] neg_hi:[0,0,1]
	v_lshl_add_u32 v29, v11, 3, v26
	v_lshl_add_u32 v30, v7, 2, v26
	v_pk_fma_f16 v3, v3, 2.0, v4 op_sel_hi:[1,0,1] neg_lo:[0,0,1] neg_hi:[0,0,1]
	s_barrier
	buffer_gl0_inv
	ds_write_b64 v30, v[5:6]
	ds_write_b64 v31, v[3:4] offset:112
	s_and_saveexec_b32 s0, vcc_lo
	s_cbranch_execz .LBB0_7
; %bb.6:
	v_pk_fma_f16 v13, v0, 2.0, v14 op_sel_hi:[1,0,1] neg_lo:[0,0,1] neg_hi:[0,0,1]
	ds_write_b64 v29, v[13:14]
.LBB0_7:
	s_or_b32 exec_lo, exec_lo, s0
	v_and_b32_e32 v6, 1, v22
	s_waitcnt lgkmcnt(0)
	s_barrier
	buffer_gl0_inv
	v_lshrrev_b32_e32 v11, 1, v22
	v_lshlrev_b32_e32 v0, 4, v6
	v_cmp_gt_u16_e64 s0, 10, v22
	v_mul_u32_u24_e32 v11, 10, v11
	global_load_dwordx4 v[0:3], v0, s[2:3]
	ds_read2_b32 v[15:16], v20 offset1:14
	ds_read2_b32 v[4:5], v20 offset0:28 offset1:42
	ds_read_b32 v7, v20 offset:224
	s_waitcnt vmcnt(0) lgkmcnt(0)
	s_barrier
	v_or_b32_e32 v6, v11, v6
	buffer_gl0_inv
	v_lshl_add_u32 v28, v6, 2, v26
	v_lshrrev_b32_e32 v6, 16, v16
	v_lshrrev_b32_e32 v11, 16, v4
	;; [unrolled: 1-line block ×5, first 2 shown]
	v_mul_f16_sdwa v17, v6, v0 dst_sel:DWORD dst_unused:UNUSED_PAD src0_sel:DWORD src1_sel:WORD_1
	v_mul_f16_sdwa v18, v16, v0 dst_sel:DWORD dst_unused:UNUSED_PAD src0_sel:DWORD src1_sel:WORD_1
	;; [unrolled: 1-line block ×8, first 2 shown]
	v_fma_f16 v16, v16, v0, -v17
	v_fmac_f16_e32 v18, v6, v0
	v_fma_f16 v4, v4, v1, -v19
	v_fmac_f16_e32 v33, v11, v1
	;; [unrolled: 2-line block ×4, first 2 shown]
	v_add_f16_e32 v7, v15, v16
	v_add_f16_e32 v11, v4, v5
	v_sub_f16_e32 v17, v16, v4
	v_sub_f16_e32 v34, v6, v5
	v_add_f16_e32 v40, v32, v18
	v_add_f16_e32 v41, v33, v35
	;; [unrolled: 1-line block ×4, first 2 shown]
	v_sub_f16_e32 v12, v18, v37
	v_sub_f16_e32 v19, v33, v35
	;; [unrolled: 1-line block ×7, first 2 shown]
	v_add_f16_e32 v4, v7, v4
	v_fma_f16 v13, -0.5, v11, v15
	v_add_f16_e32 v7, v17, v34
	v_add_f16_e32 v33, v40, v33
	v_fma_f16 v34, -0.5, v41, v32
	v_sub_f16_e32 v39, v5, v6
	v_sub_f16_e32 v46, v35, v37
	v_fmac_f16_e32 v15, -0.5, v36
	v_fmac_f16_e32 v32, -0.5, v45
	v_sub_f16_e32 v44, v37, v35
	v_add_f16_e32 v4, v4, v5
	v_fmamk_f16 v17, v12, 0x3b9c, v13
	v_add_f16_e32 v5, v33, v35
	v_fmamk_f16 v35, v42, 0xbb9c, v34
	v_add_f16_e32 v11, v38, v39
	v_add_f16_e32 v39, v18, v46
	v_fmamk_f16 v18, v19, 0xbb9c, v15
	v_fmac_f16_e32 v15, 0x3b9c, v19
	v_fmamk_f16 v36, v43, 0x3b9c, v32
	v_fmac_f16_e32 v32, 0xbb9c, v43
	v_fmac_f16_e32 v13, 0xbb9c, v12
	;; [unrolled: 1-line block ×3, first 2 shown]
	v_add_f16_e32 v38, v16, v44
	v_fmac_f16_e32 v17, 0x38b4, v19
	v_fmac_f16_e32 v35, 0xb8b4, v43
	;; [unrolled: 1-line block ×8, first 2 shown]
	v_add_f16_e32 v16, v4, v6
	v_add_f16_e32 v33, v5, v37
	v_fmac_f16_e32 v17, 0x34f2, v7
	v_fmac_f16_e32 v35, 0x34f2, v38
	;; [unrolled: 1-line block ×8, first 2 shown]
	v_pack_b32_f16 v4, v16, v33
	v_pack_b32_f16 v5, v17, v35
	;; [unrolled: 1-line block ×5, first 2 shown]
	ds_write2_b32 v28, v4, v5 offset1:2
	ds_write2_b32 v28, v6, v7 offset0:4 offset1:6
	ds_write_b32 v28, v11 offset:32
	s_waitcnt lgkmcnt(0)
	s_barrier
	buffer_gl0_inv
                                        ; implicit-def: $vgpr37
                                        ; implicit-def: $vgpr38
	s_and_saveexec_b32 s1, s0
	s_cbranch_execz .LBB0_9
; %bb.8:
	ds_read2_b32 v[16:17], v20 offset1:10
	ds_read2_b32 v[18:19], v20 offset0:20 offset1:30
	ds_read2_b32 v[13:14], v20 offset0:40 offset1:50
	ds_read_b32 v37, v20 offset:240
	s_waitcnt lgkmcnt(3)
	v_lshrrev_b32_e32 v33, 16, v16
	v_lshrrev_b32_e32 v35, 16, v17
	s_waitcnt lgkmcnt(2)
	v_lshrrev_b32_e32 v36, 16, v18
	v_lshrrev_b32_e32 v32, 16, v19
	s_waitcnt lgkmcnt(1)
	v_lshrrev_b32_e32 v34, 16, v13
	s_waitcnt lgkmcnt(0)
	v_lshrrev_b32_e32 v38, 16, v37
	v_mov_b32_e32 v15, v19
.LBB0_9:
	s_or_b32 exec_lo, exec_lo, s1
	v_add_nc_u32_e32 v4, -10, v22
	v_lshrrev_b32_e32 v19, 16, v14
	v_cndmask_b32_e64 v4, v4, v22, s0
	v_mul_i32_i24_e32 v5, 24, v4
	v_mul_hi_i32_i24_e32 v4, 24, v4
	v_add_co_u32 v11, s1, s2, v5
	v_add_co_ci_u32_e64 v12, s1, s3, v4, s1
	s_clause 0x1
	global_load_dwordx4 v[4:7], v[11:12], off offset:32
	global_load_dwordx2 v[11:12], v[11:12], off offset:48
	s_waitcnt vmcnt(1)
	v_mul_f16_sdwa v39, v35, v4 dst_sel:DWORD dst_unused:UNUSED_PAD src0_sel:DWORD src1_sel:WORD_1
	v_mul_f16_sdwa v40, v17, v4 dst_sel:DWORD dst_unused:UNUSED_PAD src0_sel:DWORD src1_sel:WORD_1
	;; [unrolled: 1-line block ×5, first 2 shown]
	s_waitcnt vmcnt(0)
	v_mul_f16_sdwa v47, v19, v11 dst_sel:DWORD dst_unused:UNUSED_PAD src0_sel:DWORD src1_sel:WORD_1
	v_mul_f16_sdwa v48, v14, v11 dst_sel:DWORD dst_unused:UNUSED_PAD src0_sel:DWORD src1_sel:WORD_1
	;; [unrolled: 1-line block ×7, first 2 shown]
	v_fma_f16 v17, v17, v4, -v39
	v_fmac_f16_e32 v40, v35, v4
	v_fma_f16 v18, v18, v5, -v41
	v_fmac_f16_e32 v42, v36, v5
	v_fmac_f16_e32 v44, v32, v6
	v_fma_f16 v32, v37, v12, -v49
	v_fmac_f16_e32 v50, v38, v12
	v_fma_f16 v14, v14, v11, -v47
	;; [unrolled: 2-line block ×3, first 2 shown]
	v_fma_f16 v13, v13, v7, -v45
	v_fmac_f16_e32 v46, v34, v7
	v_add_f16_e32 v19, v17, v32
	v_add_f16_e32 v34, v40, v50
	;; [unrolled: 1-line block ×4, first 2 shown]
	v_sub_f16_e32 v17, v17, v32
	v_sub_f16_e32 v32, v40, v50
	;; [unrolled: 1-line block ×4, first 2 shown]
	v_add_f16_e32 v37, v15, v13
	v_add_f16_e32 v38, v44, v46
	v_sub_f16_e32 v13, v13, v15
	v_sub_f16_e32 v15, v46, v44
	v_add_f16_e32 v39, v35, v19
	v_add_f16_e32 v40, v36, v34
	v_sub_f16_e32 v41, v35, v19
	v_sub_f16_e32 v42, v36, v34
	;; [unrolled: 1-line block ×6, first 2 shown]
	v_add_f16_e32 v43, v13, v14
	v_add_f16_e32 v44, v15, v18
	v_sub_f16_e32 v45, v13, v14
	v_sub_f16_e32 v46, v15, v18
	;; [unrolled: 1-line block ×4, first 2 shown]
	v_add_f16_e32 v39, v37, v39
	v_add_f16_e32 v40, v38, v40
	v_sub_f16_e32 v13, v17, v13
	v_sub_f16_e32 v47, v32, v15
	v_add_f16_e32 v43, v43, v17
	v_add_f16_e32 v32, v44, v32
	v_mul_f16_e32 v17, 0x3a52, v19
	v_mul_f16_e32 v18, 0x3a52, v34
	;; [unrolled: 1-line block ×8, first 2 shown]
	v_add_f16_e32 v15, v16, v39
	v_add_f16_e32 v16, v33, v40
	v_fmamk_f16 v33, v35, 0x2b26, v17
	v_fmamk_f16 v46, v36, 0x2b26, v18
	v_fma_f16 v19, v41, 0x39e0, -v19
	v_fma_f16 v34, v42, 0x39e0, -v34
	;; [unrolled: 1-line block ×4, first 2 shown]
	v_fmamk_f16 v17, v13, 0x3574, v37
	v_fmamk_f16 v18, v47, 0x3574, v38
	v_fma_f16 v37, v14, 0x3b00, -v37
	v_fma_f16 v35, v48, 0x3b00, -v38
	;; [unrolled: 1-line block ×4, first 2 shown]
	v_fmamk_f16 v13, v39, 0xbcab, v15
	v_fmamk_f16 v14, v40, 0xbcab, v16
	v_fmac_f16_e32 v17, 0x370e, v43
	v_fmac_f16_e32 v18, 0x370e, v32
	;; [unrolled: 1-line block ×6, first 2 shown]
	v_add_f16_e32 v40, v33, v13
	v_add_f16_e32 v39, v19, v13
	;; [unrolled: 1-line block ×7, first 2 shown]
	v_sub_f16_e32 v33, v43, v37
	v_sub_f16_e32 v14, v41, v36
	v_add_f16_e32 v34, v38, v44
	v_sub_f16_e32 v19, v40, v18
	v_add_f16_e32 v32, v17, v42
	s_and_saveexec_b32 s1, s0
	s_cbranch_execz .LBB0_11
; %bb.10:
	v_sub_f16_e32 v38, v44, v38
	v_sub_f16_e32 v17, v42, v17
	v_add_f16_e32 v18, v18, v40
	v_add_f16_e32 v36, v36, v41
	;; [unrolled: 1-line block ×3, first 2 shown]
	v_sub_f16_e32 v35, v39, v35
	v_perm_b32 v15, v16, v15, 0x5040100
	v_lshl_add_u32 v16, v22, 2, v26
	v_pack_b32_f16 v17, v18, v17
	v_pack_b32_f16 v18, v36, v38
	;; [unrolled: 1-line block ×3, first 2 shown]
	v_perm_b32 v36, v33, v13, 0x5040100
	v_perm_b32 v37, v34, v14, 0x5040100
	;; [unrolled: 1-line block ×3, first 2 shown]
	ds_write_b32 v20, v15
	ds_write2_b32 v16, v17, v18 offset0:10 offset1:20
	ds_write2_b32 v16, v35, v36 offset0:30 offset1:40
	;; [unrolled: 1-line block ×3, first 2 shown]
.LBB0_11:
	s_or_b32 exec_lo, exec_lo, s1
	s_add_u32 s2, s16, 0x118
	s_addc_u32 s3, s17, 0
	s_waitcnt lgkmcnt(0)
	s_barrier
	buffer_gl0_inv
	s_clause 0x3
	global_load_dword v35, v[8:9], off offset:280
	global_load_dword v36, v27, s[2:3] offset:140
	global_load_dword v37, v27, s[2:3] offset:196
	;; [unrolled: 1-line block ×3, first 2 shown]
	ds_read2_b32 v[15:16], v20 offset1:14
	ds_read2_b32 v[17:18], v20 offset0:35 offset1:49
	s_waitcnt lgkmcnt(1)
	v_lshrrev_b32_e32 v39, 16, v15
	v_lshrrev_b32_e32 v41, 16, v16
	s_waitcnt lgkmcnt(0)
	v_lshrrev_b32_e32 v40, 16, v17
	v_lshrrev_b32_e32 v42, 16, v18
	s_waitcnt vmcnt(3)
	v_mul_f16_sdwa v43, v39, v35 dst_sel:DWORD dst_unused:UNUSED_PAD src0_sel:DWORD src1_sel:WORD_1
	v_mul_f16_sdwa v44, v15, v35 dst_sel:DWORD dst_unused:UNUSED_PAD src0_sel:DWORD src1_sel:WORD_1
	s_waitcnt vmcnt(2)
	v_mul_f16_sdwa v45, v40, v36 dst_sel:DWORD dst_unused:UNUSED_PAD src0_sel:DWORD src1_sel:WORD_1
	s_waitcnt vmcnt(0)
	v_mul_f16_sdwa v47, v41, v38 dst_sel:DWORD dst_unused:UNUSED_PAD src0_sel:DWORD src1_sel:WORD_1
	v_mul_f16_sdwa v48, v16, v38 dst_sel:DWORD dst_unused:UNUSED_PAD src0_sel:DWORD src1_sel:WORD_1
	;; [unrolled: 1-line block ×5, first 2 shown]
	v_fma_f16 v15, v15, v35, -v43
	v_fmac_f16_e32 v44, v39, v35
	v_fma_f16 v16, v16, v38, -v47
	v_fmac_f16_e32 v48, v41, v38
	;; [unrolled: 2-line block ×4, first 2 shown]
	v_pack_b32_f16 v15, v15, v44
	v_pack_b32_f16 v16, v16, v48
	;; [unrolled: 1-line block ×4, first 2 shown]
	ds_write2_b32 v20, v15, v16 offset1:14
	ds_write2_b32 v20, v17, v18 offset0:35 offset1:49
	s_and_saveexec_b32 s1, vcc_lo
	s_cbranch_execz .LBB0_13
; %bb.12:
	v_add_co_u32 v15, s2, s2, v27
	v_add_co_ci_u32_e64 v16, null, s3, 0, s2
	s_clause 0x1
	global_load_dword v17, v[15:16], off offset:112
	global_load_dword v18, v[15:16], off offset:252
	ds_read2_b32 v[15:16], v20 offset0:28 offset1:63
	s_waitcnt lgkmcnt(0)
	v_lshrrev_b32_e32 v27, 16, v15
	v_lshrrev_b32_e32 v35, 16, v16
	s_waitcnt vmcnt(1)
	v_mul_f16_sdwa v36, v27, v17 dst_sel:DWORD dst_unused:UNUSED_PAD src0_sel:DWORD src1_sel:WORD_1
	v_mul_f16_sdwa v37, v15, v17 dst_sel:DWORD dst_unused:UNUSED_PAD src0_sel:DWORD src1_sel:WORD_1
	s_waitcnt vmcnt(0)
	v_mul_f16_sdwa v38, v35, v18 dst_sel:DWORD dst_unused:UNUSED_PAD src0_sel:DWORD src1_sel:WORD_1
	v_mul_f16_sdwa v39, v16, v18 dst_sel:DWORD dst_unused:UNUSED_PAD src0_sel:DWORD src1_sel:WORD_1
	v_fma_f16 v15, v15, v17, -v36
	v_fmac_f16_e32 v37, v27, v17
	v_fma_f16 v16, v16, v18, -v38
	v_fmac_f16_e32 v39, v35, v18
	v_pack_b32_f16 v15, v15, v37
	v_pack_b32_f16 v16, v16, v39
	ds_write2_b32 v20, v15, v16 offset0:28 offset1:63
.LBB0_13:
	s_or_b32 exec_lo, exec_lo, s1
	s_waitcnt lgkmcnt(0)
	s_barrier
	buffer_gl0_inv
	ds_read2_b32 v[15:16], v20 offset1:14
	ds_read2_b32 v[17:18], v20 offset0:35 offset1:49
	v_add_nc_u32_e32 v27, 0x70, v31
	s_and_saveexec_b32 s1, vcc_lo
	s_cbranch_execz .LBB0_15
; %bb.14:
	v_lshl_add_u32 v13, v22, 2, v26
	ds_read2_b32 v[13:14], v13 offset0:28 offset1:63
	s_waitcnt lgkmcnt(0)
	v_lshrrev_b32_e32 v33, 16, v13
	v_lshrrev_b32_e32 v34, 16, v14
.LBB0_15:
	s_or_b32 exec_lo, exec_lo, s1
	s_waitcnt lgkmcnt(0)
	v_pk_add_f16 v35, v15, v17 neg_lo:[0,1] neg_hi:[0,1]
	v_pk_add_f16 v37, v16, v18 neg_lo:[0,1] neg_hi:[0,1]
	v_sub_f16_e32 v14, v13, v14
	v_sub_f16_e32 v17, v33, v34
	v_pk_fma_f16 v34, v15, 2.0, v35 op_sel_hi:[1,0,1] neg_lo:[0,0,1] neg_hi:[0,0,1]
	v_pk_fma_f16 v36, v16, 2.0, v37 op_sel_hi:[1,0,1] neg_lo:[0,0,1] neg_hi:[0,0,1]
	s_barrier
	buffer_gl0_inv
	ds_write_b64 v30, v[34:35]
	ds_write_b64 v27, v[36:37]
	s_and_saveexec_b32 s1, vcc_lo
	s_cbranch_execz .LBB0_17
; %bb.16:
	v_fma_f16 v13, v13, 2.0, -v14
	v_fma_f16 v15, v33, 2.0, -v17
	v_perm_b32 v16, v17, v14, 0x5040100
	v_pack_b32_f16 v15, v13, v15
	ds_write_b64 v29, v[15:16]
.LBB0_17:
	s_or_b32 exec_lo, exec_lo, s1
	s_waitcnt lgkmcnt(0)
	s_barrier
	buffer_gl0_inv
	ds_read2_b32 v[15:16], v20 offset1:14
	ds_read2_b32 v[29:30], v20 offset0:28 offset1:42
	ds_read_b32 v13, v20 offset:224
	s_waitcnt lgkmcnt(0)
	s_barrier
	buffer_gl0_inv
	v_lshrrev_b32_e32 v27, 16, v16
	v_lshrrev_b32_e32 v31, 16, v29
	;; [unrolled: 1-line block ×4, first 2 shown]
	v_mul_f16_sdwa v35, v0, v16 dst_sel:DWORD dst_unused:UNUSED_PAD src0_sel:WORD_1 src1_sel:DWORD
	v_mul_f16_sdwa v36, v1, v29 dst_sel:DWORD dst_unused:UNUSED_PAD src0_sel:WORD_1 src1_sel:DWORD
	;; [unrolled: 1-line block ×5, first 2 shown]
	v_fma_f16 v35, v0, v27, -v35
	v_fma_f16 v31, v1, v31, -v36
	v_mul_f16_sdwa v36, v2, v33 dst_sel:DWORD dst_unused:UNUSED_PAD src0_sel:WORD_1 src1_sel:DWORD
	v_mul_f16_sdwa v27, v3, v34 dst_sel:DWORD dst_unused:UNUSED_PAD src0_sel:WORD_1 src1_sel:DWORD
	;; [unrolled: 1-line block ×3, first 2 shown]
	v_fmac_f16_e32 v39, v0, v16
	v_fmac_f16_e32 v40, v1, v29
	;; [unrolled: 1-line block ×4, first 2 shown]
	v_fma_f16 v33, v2, v33, -v37
	v_fma_f16 v34, v3, v34, -v38
	v_add_f16_e32 v2, v15, v39
	v_add_f16_e32 v13, v40, v36
	;; [unrolled: 1-line block ×3, first 2 shown]
	v_lshrrev_b32_e32 v18, 16, v15
	v_sub_f16_e32 v0, v31, v33
	v_add_f16_e32 v2, v2, v40
	v_fma_f16 v13, -0.5, v13, v15
	v_fmac_f16_e32 v15, -0.5, v38
	v_sub_f16_e32 v3, v35, v34
	v_add_f16_e32 v29, v18, v35
	v_add_f16_e32 v1, v31, v33
	;; [unrolled: 1-line block ×3, first 2 shown]
	v_fmamk_f16 v2, v0, 0x3b9c, v15
	v_fmac_f16_e32 v15, 0xbb9c, v0
	v_sub_f16_e32 v30, v39, v40
	v_sub_f16_e32 v37, v27, v36
	;; [unrolled: 1-line block ×4, first 2 shown]
	v_fma_f16 v16, -0.5, v1, v18
	v_fmamk_f16 v1, v3, 0xbb9c, v13
	v_fmac_f16_e32 v13, 0x3b9c, v3
	v_fmac_f16_e32 v2, 0xb8b4, v3
	;; [unrolled: 1-line block ×3, first 2 shown]
	v_add_f16_e32 v3, v29, v31
	v_add_f16_e32 v29, v35, v34
	v_sub_f16_e32 v39, v39, v27
	v_add_f16_e32 v30, v30, v37
	v_add_f16_e32 v37, v41, v42
	v_fmac_f16_e32 v1, 0xb8b4, v0
	v_fmac_f16_e32 v13, 0x38b4, v0
	v_sub_f16_e32 v36, v40, v36
	v_fmac_f16_e32 v18, -0.5, v29
	v_add_f16_e32 v0, v38, v27
	v_fmamk_f16 v27, v39, 0x3b9c, v16
	v_fmac_f16_e32 v2, 0x34f2, v37
	v_fmac_f16_e32 v15, 0x34f2, v37
	v_sub_f16_e32 v29, v35, v31
	v_sub_f16_e32 v37, v34, v33
	v_fmac_f16_e32 v1, 0x34f2, v30
	v_fmac_f16_e32 v13, 0x34f2, v30
	v_add_f16_e32 v3, v3, v33
	v_fmamk_f16 v30, v36, 0xbb9c, v18
	v_sub_f16_e32 v31, v31, v35
	v_sub_f16_e32 v33, v33, v34
	v_fmac_f16_e32 v18, 0x3b9c, v36
	v_fmac_f16_e32 v16, 0xbb9c, v39
	;; [unrolled: 1-line block ×3, first 2 shown]
	v_add_f16_e32 v35, v29, v37
	v_fmac_f16_e32 v30, 0x38b4, v39
	v_add_f16_e32 v31, v31, v33
	v_fmac_f16_e32 v18, 0xb8b4, v39
	v_fmac_f16_e32 v16, 0xb8b4, v36
	v_add_f16_e32 v29, v3, v34
	v_fmac_f16_e32 v27, 0x34f2, v35
	v_fmac_f16_e32 v30, 0x34f2, v31
	;; [unrolled: 1-line block ×4, first 2 shown]
	v_pack_b32_f16 v3, v0, v29
	v_pack_b32_f16 v31, v1, v27
	;; [unrolled: 1-line block ×5, first 2 shown]
	ds_write2_b32 v28, v3, v31 offset1:2
	ds_write2_b32 v28, v33, v34 offset0:4 offset1:6
	ds_write_b32 v28, v35 offset:32
	s_waitcnt lgkmcnt(0)
	s_barrier
	buffer_gl0_inv
	s_and_saveexec_b32 s1, s0
	s_cbranch_execz .LBB0_19
; %bb.18:
	ds_read2_b32 v[0:1], v20 offset1:10
	ds_read2_b32 v[2:3], v20 offset0:20 offset1:30
	ds_read2_b32 v[13:14], v20 offset0:40 offset1:50
	ds_read_b32 v19, v20 offset:240
	s_waitcnt lgkmcnt(3)
	v_lshrrev_b32_e32 v29, 16, v0
	v_lshrrev_b32_e32 v27, 16, v1
	s_waitcnt lgkmcnt(2)
	v_lshrrev_b32_e32 v30, 16, v2
	v_lshrrev_b32_e32 v18, 16, v3
	;; [unrolled: 3-line block ×3, first 2 shown]
	s_waitcnt lgkmcnt(0)
	v_lshrrev_b32_e32 v32, 16, v19
	v_mov_b32_e32 v15, v3
.LBB0_19:
	s_or_b32 exec_lo, exec_lo, s1
	s_and_saveexec_b32 s1, s0
	s_cbranch_execz .LBB0_21
; %bb.20:
	v_mul_f16_sdwa v3, v4, v27 dst_sel:DWORD dst_unused:UNUSED_PAD src0_sel:WORD_1 src1_sel:DWORD
	v_mul_f16_sdwa v33, v5, v30 dst_sel:DWORD dst_unused:UNUSED_PAD src0_sel:WORD_1 src1_sel:DWORD
	;; [unrolled: 1-line block ×5, first 2 shown]
	v_fmac_f16_e32 v3, v4, v1
	v_fmac_f16_e32 v33, v5, v2
	;; [unrolled: 1-line block ×4, first 2 shown]
	v_mul_f16_sdwa v19, v12, v19 dst_sel:DWORD dst_unused:UNUSED_PAD src0_sel:WORD_1 src1_sel:DWORD
	v_mul_f16_sdwa v1, v4, v1 dst_sel:DWORD dst_unused:UNUSED_PAD src0_sel:WORD_1 src1_sel:DWORD
	;; [unrolled: 1-line block ×5, first 2 shown]
	v_fmac_f16_e32 v28, v7, v13
	v_fma_f16 v12, v12, v32, -v19
	v_fma_f16 v1, v4, v27, -v1
	v_mul_f16_sdwa v4, v6, v15 dst_sel:DWORD dst_unused:UNUSED_PAD src0_sel:WORD_1 src1_sel:DWORD
	v_mul_f16_sdwa v13, v7, v13 dst_sel:DWORD dst_unused:UNUSED_PAD src0_sel:WORD_1 src1_sel:DWORD
	v_fma_f16 v11, v11, v17, -v14
	v_fma_f16 v2, v5, v30, -v2
	v_fmac_f16_e32 v31, v6, v15
	v_add_f16_e32 v14, v12, v1
	v_fma_f16 v4, v6, v18, -v4
	v_fma_f16 v6, v7, v16, -v13
	v_add_f16_e32 v7, v11, v2
	v_sub_f16_e32 v38, v3, v35
	v_add_f16_e32 v3, v35, v3
	v_add_f16_e32 v18, v34, v33
	;; [unrolled: 1-line block ×5, first 2 shown]
	v_sub_f16_e32 v36, v28, v31
	v_sub_f16_e32 v37, v33, v34
	;; [unrolled: 1-line block ×3, first 2 shown]
	v_add_f16_e32 v16, v15, v16
	v_sub_f16_e32 v31, v3, v27
	v_sub_f16_e32 v4, v6, v4
	;; [unrolled: 1-line block ×4, first 2 shown]
	v_add_f16_e32 v28, v29, v16
	v_add_f16_e32 v29, v18, v3
	v_sub_f16_e32 v39, v36, v37
	v_sub_f16_e32 v15, v15, v7
	v_mul_f16_e32 v17, 0x3a52, v17
	v_mul_f16_e32 v6, 0x3a52, v31
	v_add_f16_e32 v29, v27, v29
	v_sub_f16_e32 v12, v4, v2
	v_sub_f16_e32 v31, v1, v4
	;; [unrolled: 1-line block ×3, first 2 shown]
	v_add_f16_e32 v4, v4, v2
	v_sub_f16_e32 v7, v7, v14
	v_sub_f16_e32 v2, v2, v1
	;; [unrolled: 1-line block ×4, first 2 shown]
	v_mul_f16_e32 v32, 0x3846, v39
	v_add_f16_e32 v5, v36, v37
	v_mul_f16_e32 v30, 0x2b26, v15
	v_fmamk_f16 v15, v15, 0x2b26, v17
	v_add_f16_e32 v0, v0, v29
	v_mul_f16_e32 v12, 0x3846, v12
	v_mul_f16_e32 v36, 0xbb00, v34
	v_sub_f16_e32 v3, v18, v3
	v_fma_f16 v14, v7, 0xb9e0, -v17
	v_mul_f16_e32 v17, 0xbb00, v2
	v_fmamk_f16 v27, v11, 0x2b26, v6
	v_mul_f16_e32 v11, 0x2b26, v11
	v_fmamk_f16 v13, v19, 0xb574, v32
	v_add_f16_e32 v5, v5, v38
	v_fmamk_f16 v16, v16, 0xbcab, v28
	v_fmamk_f16 v29, v29, 0xbcab, v0
	;; [unrolled: 1-line block ×3, first 2 shown]
	v_add_f16_e32 v1, v4, v1
	v_fma_f16 v4, v19, 0x3574, -v36
	v_fma_f16 v6, v3, 0xb9e0, -v6
	;; [unrolled: 1-line block ×7, first 2 shown]
	v_fmac_f16_e32 v13, 0xb70e, v5
	v_add_f16_e32 v15, v15, v16
	v_add_f16_e32 v27, v27, v29
	v_fmac_f16_e32 v35, 0xb70e, v1
	v_fmac_f16_e32 v4, 0xb70e, v5
	v_add_f16_e32 v14, v14, v16
	v_add_f16_e32 v6, v6, v29
	v_fmac_f16_e32 v17, 0xb70e, v1
	v_add_f16_e32 v7, v7, v16
	v_fmac_f16_e32 v18, 0xb70e, v5
	v_fmac_f16_e32 v2, 0xb70e, v1
	v_add_f16_e32 v1, v3, v29
	v_add_f16_e32 v33, v13, v15
	;; [unrolled: 1-line block ×3, first 2 shown]
	v_sub_f16_e32 v11, v6, v17
	v_sub_f16_e32 v4, v14, v4
	;; [unrolled: 1-line block ×3, first 2 shown]
	v_add_f16_e32 v14, v35, v27
	v_add_f16_e32 v6, v17, v6
	v_sub_f16_e32 v12, v7, v18
	v_add_f16_e32 v16, v2, v1
	v_add_f16_e32 v7, v18, v7
	v_sub_f16_e32 v1, v1, v2
	v_sub_f16_e32 v3, v27, v35
	v_pack_b32_f16 v0, v0, v28
	v_lshl_add_u32 v2, v22, 2, v26
	v_pack_b32_f16 v13, v14, v13
	v_pack_b32_f16 v4, v6, v4
	;; [unrolled: 1-line block ×6, first 2 shown]
	ds_write_b32 v20, v0
	ds_write2_b32 v2, v13, v4 offset0:10 offset1:20
	ds_write2_b32 v2, v1, v6 offset0:30 offset1:40
	;; [unrolled: 1-line block ×3, first 2 shown]
.LBB0_21:
	s_or_b32 exec_lo, exec_lo, s1
	s_waitcnt lgkmcnt(0)
	s_barrier
	buffer_gl0_inv
	ds_read2_b32 v[0:1], v20 offset1:14
	ds_read2_b32 v[2:3], v20 offset0:35 offset1:49
	s_mov_b32 s4, 0x1d41d41d
	s_mov_b32 s5, 0x3f8d41d4
	s_waitcnt lgkmcnt(1)
	v_lshrrev_b32_e32 v4, 16, v0
	v_mul_f16_sdwa v5, v24, v0 dst_sel:DWORD dst_unused:UNUSED_PAD src0_sel:WORD_1 src1_sel:DWORD
	s_waitcnt lgkmcnt(0)
	v_lshrrev_b32_e32 v6, 16, v2
	v_mul_f16_sdwa v7, v25, v2 dst_sel:DWORD dst_unused:UNUSED_PAD src0_sel:WORD_1 src1_sel:DWORD
	v_lshrrev_b32_e32 v27, 16, v1
	v_mul_f16_sdwa v12, v24, v4 dst_sel:DWORD dst_unused:UNUSED_PAD src0_sel:WORD_1 src1_sel:DWORD
	v_fma_f16 v11, v24, v4, -v5
	v_mul_f16_sdwa v17, v25, v6 dst_sel:DWORD dst_unused:UNUSED_PAD src0_sel:WORD_1 src1_sel:DWORD
	v_fma_f16 v7, v25, v6, -v7
	v_mad_u64_u32 v[4:5], null, s10, v10, 0
	v_cvt_f32_f16_e32 v11, v11
	v_fmac_f16_e32 v12, v24, v0
	v_cvt_f32_f16_e32 v0, v7
	v_mul_f16_sdwa v24, v23, v27 dst_sel:DWORD dst_unused:UNUSED_PAD src0_sel:WORD_1 src1_sel:DWORD
	v_fmac_f16_e32 v17, v25, v2
	v_cvt_f64_f32_e32 v[6:7], v11
	v_cvt_f32_f16_e32 v15, v12
	v_cvt_f64_f32_e32 v[13:14], v0
	v_mad_u64_u32 v[11:12], null, s8, v22, 0
	v_mov_b32_e32 v0, v5
	v_cvt_f64_f32_e32 v[15:16], v15
	v_fmac_f16_e32 v24, v23, v1
	v_cvt_f32_f16_e32 v5, v17
	v_mad_u64_u32 v[17:18], null, s11, v10, v[0:1]
	v_mov_b32_e32 v2, v12
	v_cvt_f32_f16_e32 v0, v24
	v_cvt_f64_f32_e32 v[18:19], v5
	v_mad_u64_u32 v[24:25], null, s9, v22, v[2:3]
	v_cvt_f64_f32_e32 v[25:26], v0
	v_mul_f16_sdwa v2, v23, v1 dst_sel:DWORD dst_unused:UNUSED_PAD src0_sel:WORD_1 src1_sel:DWORD
	v_mov_b32_e32 v5, v17
	v_mul_f64 v[6:7], v[6:7], s[4:5]
	v_mul_f64 v[0:1], v[13:14], s[4:5]
	v_mov_b32_e32 v12, v24
	v_lshlrev_b64 v[4:5], 2, v[4:5]
	v_fma_f16 v2, v23, v27, -v2
	v_mul_f64 v[13:14], v[15:16], s[4:5]
	v_lshlrev_b64 v[10:11], 2, v[11:12]
	v_add_co_u32 v12, s0, s6, v4
	v_add_co_ci_u32_e64 v15, s0, s7, v5, s0
	v_mul_f64 v[4:5], v[18:19], s[4:5]
	v_add_co_u32 v10, s0, v12, v10
	v_add_co_ci_u32_e64 v11, s0, v15, v11, s0
	v_mul_f64 v[15:16], v[25:26], s[4:5]
	v_cvt_f32_f16_e32 v2, v2
	s_mul_i32 s6, s8, 0xffffffeb
	v_and_or_b32 v6, 0x1ff, v7, v6
	v_bfe_u32 v17, v7, 20, 11
	v_and_or_b32 v0, 0x1ff, v1, v0
	v_bfe_u32 v19, v1, 20, 11
	v_lshrrev_b32_e32 v12, 8, v7
	v_cmp_ne_u32_e64 s0, 0, v6
	v_and_or_b32 v13, 0x1ff, v14, v13
	v_lshrrev_b32_e32 v22, 8, v14
	v_bfe_u32 v23, v14, 20, 11
	v_lshrrev_b32_e32 v18, 8, v1
	v_cndmask_b32_e64 v6, 0, 1, s0
	v_cmp_ne_u32_e64 s0, 0, v0
	v_sub_nc_u32_e32 v24, 0x3f1, v17
	v_sub_nc_u32_e32 v27, 0x3f1, v19
	v_and_or_b32 v4, 0x1ff, v5, v4
	v_bfe_u32 v26, v5, 20, 11
	v_cndmask_b32_e64 v0, 0, 1, s0
	v_cmp_ne_u32_e64 s0, 0, v13
	v_sub_nc_u32_e32 v28, 0x3f1, v23
	v_and_or_b32 v6, 0xffe, v12, v6
	v_med3_i32 v12, v24, 0, 13
	v_sub_nc_u32_e32 v24, 0x3f1, v26
	v_cndmask_b32_e64 v13, 0, 1, s0
	v_cmp_ne_u32_e64 s0, 0, v4
	v_and_or_b32 v0, 0xffe, v18, v0
	v_med3_i32 v18, v27, 0, 13
	v_add_nc_u32_e32 v17, 0xfffffc10, v17
	v_and_or_b32 v13, 0xffe, v22, v13
	v_add_nc_u32_e32 v22, 0xfffffc10, v26
	v_med3_i32 v26, v28, 0, 13
	v_lshrrev_b32_e32 v25, 8, v5
	v_cndmask_b32_e64 v4, 0, 1, s0
	v_or_b32_e32 v27, 0x1000, v13
	v_or_b32_e32 v28, 0x1000, v6
	v_cmp_ne_u32_e64 s0, 0, v6
	v_add_nc_u32_e32 v23, 0xfffffc10, v23
	v_lshl_or_b32 v29, v17, 12, v6
	v_lshrrev_b32_e32 v30, v26, v27
	v_and_or_b32 v4, 0xffe, v25, v4
	v_cndmask_b32_e64 v6, 0, 1, s0
	v_lshrrev_b32_e32 v25, v12, v28
	v_cmp_ne_u32_e64 s0, 0, v13
	v_lshlrev_b32_e32 v26, v26, v30
	v_lshl_or_b32 v32, v23, 12, v13
	v_med3_i32 v24, v24, 0, 13
	v_lshlrev_b32_e32 v12, v12, v25
	v_cndmask_b32_e64 v13, 0, 1, s0
	v_cmp_ne_u32_e64 s0, v26, v27
	v_or_b32_e32 v27, 0x1000, v4
	v_or_b32_e32 v31, 0x1000, v0
	v_lshrrev_b32_e32 v14, 16, v14
	v_lshl_or_b32 v13, v13, 9, 0x7c00
	v_cndmask_b32_e64 v26, 0, 1, s0
	v_cmp_ne_u32_e64 s0, v12, v28
	v_lshl_or_b32 v28, v22, 12, v4
	v_lshl_or_b32 v6, v6, 9, 0x7c00
	v_lshrrev_b32_e32 v7, 16, v7
	v_or_b32_e32 v26, v30, v26
	v_cndmask_b32_e64 v12, 0, 1, s0
	v_cmp_gt_i32_e64 s0, 1, v23
	v_and_or_b32 v15, 0x1ff, v16, v15
	v_lshrrev_b32_e32 v5, 16, v5
	v_or_b32_e32 v12, v25, v12
	v_lshrrev_b32_e32 v25, v24, v27
	v_cndmask_b32_e64 v26, v32, v26, s0
	v_cmp_gt_i32_e64 s0, 1, v17
	v_lshlrev_b32_e32 v24, v24, v25
	v_and_b32_e32 v30, 7, v26
	v_cndmask_b32_e64 v12, v29, v12, s0
	v_lshrrev_b32_e32 v26, 2, v26
	v_lshrrev_b32_e32 v29, v18, v31
	v_cmp_ne_u32_e64 s0, v24, v27
	v_cmp_eq_u32_e64 s1, 3, v30
	v_and_b32_e32 v32, 7, v12
	v_lshrrev_b32_e32 v12, 2, v12
	v_cndmask_b32_e64 v24, 0, 1, s0
	v_cmp_lt_i32_e64 s0, 5, v30
	v_cmp_lt_i32_e64 s2, 5, v32
	v_cmp_eq_u32_e64 s3, 3, v32
	v_or_b32_e32 v24, v25, v24
	s_or_b32 s0, s1, s0
	v_add_co_ci_u32_e64 v26, s0, 0, v26, s0
	s_or_b32 s0, s3, s2
	v_cmp_eq_u32_e64 s2, 0x40f, v22
	v_add_co_ci_u32_e64 v12, s0, 0, v12, s0
	v_cmp_gt_i32_e64 s0, 31, v23
	v_cndmask_b32_e64 v26, 0x7c00, v26, s0
	v_cmp_gt_i32_e64 s0, 31, v17
	v_cndmask_b32_e64 v12, 0x7c00, v12, s0
	v_cmp_eq_u32_e64 s0, 0x40f, v23
	v_cndmask_b32_e64 v13, v26, v13, s0
	v_cmp_gt_i32_e64 s0, 1, v22
	v_cndmask_b32_e64 v23, v28, v24, s0
	v_cmp_eq_u32_e64 s0, 0x40f, v17
	v_and_b32_e32 v17, 7, v23
	v_cndmask_b32_e64 v6, v12, v6, s0
	v_and_or_b32 v12, 0x8000, v14, v13
	v_lshlrev_b32_e32 v13, v18, v29
	v_add_nc_u32_e32 v14, 0xfffffc10, v19
	v_cmp_eq_u32_e64 s1, 3, v17
	v_and_or_b32 v6, 0x8000, v7, v6
	v_and_b32_e32 v7, 0xffff, v12
	v_cmp_ne_u32_e64 s0, v13, v31
	v_lshl_or_b32 v18, v14, 12, v0
	v_bfe_u32 v19, v16, 20, 11
	v_lshl_or_b32 v13, v6, 16, v7
	v_cndmask_b32_e64 v12, 0, 1, s0
	v_cmp_lt_i32_e64 s0, 5, v17
	v_lshrrev_b32_e32 v17, 2, v23
	v_cvt_f64_f32_e32 v[6:7], v2
	v_or_b32_e32 v12, v29, v12
	s_or_b32 s0, s1, s0
	v_add_co_ci_u32_e64 v2, s0, 0, v17, s0
	v_cmp_gt_i32_e64 s0, 1, v14
	v_lshrrev_b32_e32 v17, 8, v16
	v_lshrrev_b32_e32 v16, 16, v16
	v_cndmask_b32_e64 v12, v18, v12, s0
	v_cmp_ne_u32_e64 s0, 0, v4
	v_and_b32_e32 v18, 7, v12
	v_cndmask_b32_e64 v4, 0, 1, s0
	v_cmp_ne_u32_e64 s0, 0, v15
	v_cmp_eq_u32_e64 s1, 3, v18
	v_lshl_or_b32 v4, v4, 9, 0x7c00
	v_cndmask_b32_e64 v15, 0, 1, s0
	v_cmp_gt_i32_e64 s0, 31, v22
	v_mul_f64 v[6:7], v[6:7], s[4:5]
	v_lshrrev_b32_e32 v22, 16, v3
	v_and_or_b32 v15, 0xffe, v17, v15
	v_cndmask_b32_e64 v2, 0x7c00, v2, s0
	v_sub_nc_u32_e32 v17, 0x3f1, v19
	v_cmp_lt_i32_e64 s0, 5, v18
	v_or_b32_e32 v18, 0x1000, v15
	v_cndmask_b32_e64 v4, v2, v4, s2
	v_lshrrev_b32_e32 v2, 2, v12
	v_med3_i32 v17, v17, 0, 13
	s_or_b32 s0, s1, s0
	s_mul_hi_u32 s1, s8, 35
	v_and_or_b32 v4, 0x8000, v5, v4
	v_add_co_ci_u32_e64 v2, s0, 0, v2, s0
	v_lshrrev_b32_e32 v12, v17, v18
	v_cmp_ne_u32_e64 s0, 0, v0
	v_and_b32_e32 v4, 0xffff, v4
	s_mul_i32 s2, s8, 35
	v_lshlrev_b32_e32 v17, v17, v12
	v_cndmask_b32_e64 v0, 0, 1, s0
	v_cmp_gt_i32_e64 s0, 31, v14
	v_lshl_or_b32 v0, v0, 9, 0x7c00
	v_cndmask_b32_e64 v2, 0x7c00, v2, s0
	v_cmp_ne_u32_e64 s0, v17, v18
	v_mul_f16_sdwa v18, v21, v22 dst_sel:DWORD dst_unused:UNUSED_PAD src0_sel:WORD_1 src1_sel:DWORD
	v_cndmask_b32_e64 v17, 0, 1, s0
	v_cmp_eq_u32_e64 s0, 0x40f, v14
	v_fmac_f16_e32 v18, v21, v3
	v_or_b32_e32 v12, v12, v17
	v_cndmask_b32_e64 v14, v2, v0, s0
	v_and_or_b32 v0, 0x1ff, v7, v6
	v_lshrrev_b32_e32 v6, 16, v1
	v_mul_f16_sdwa v1, v21, v3 dst_sel:DWORD dst_unused:UNUSED_PAD src0_sel:WORD_1 src1_sel:DWORD
	v_lshrrev_b32_e32 v2, 8, v7
	v_bfe_u32 v17, v7, 20, 11
	v_cmp_ne_u32_e64 s0, 0, v0
	v_cvt_f32_f16_e32 v3, v18
	v_fma_f16 v1, v21, v22, -v1
	v_add_nc_u32_e32 v18, 0xfffffc10, v19
	v_and_or_b32 v5, 0x8000, v6, v14
	v_cndmask_b32_e64 v0, 0, 1, s0
	v_lshrrev_b32_e32 v7, 16, v7
	v_cvt_f32_f16_e32 v21, v1
	v_lshl_or_b32 v22, v18, 12, v15
	v_cmp_gt_i32_e64 s0, 1, v18
	v_and_or_b32 v19, 0xffe, v2, v0
	v_sub_nc_u32_e32 v2, 0x3f1, v17
	v_cvt_f64_f32_e32 v[0:1], v3
	v_add_nc_u32_e32 v17, 0xfffffc10, v17
	v_cndmask_b32_e64 v6, v22, v12, s0
	v_or_b32_e32 v23, 0x1000, v19
	v_med3_i32 v24, v2, 0, 13
	v_cvt_f64_f32_e32 v[2:3], v21
	s_mul_i32 s0, s9, 35
	v_and_b32_e32 v14, 7, v6
	s_add_i32 s3, s1, s0
	v_lshrrev_b32_e32 v12, v24, v23
	v_lshl_or_b32 v22, v5, 16, v4
	v_lshrrev_b32_e32 v5, 2, v6
	v_cmp_lt_i32_e64 s0, 5, v14
	v_lshl_or_b32 v6, v17, 12, v19
	v_lshlrev_b32_e32 v21, v24, v12
	s_lshl_b64 s[10:11], s[2:3], 2
	s_mul_i32 s2, s9, 0xffffffeb
	v_cmp_ne_u32_e64 s1, v21, v23
	v_mul_f64 v[0:1], v[0:1], s[4:5]
	v_cndmask_b32_e64 v4, 0, 1, s1
	v_cmp_eq_u32_e64 s1, 3, v14
	v_mul_f64 v[2:3], v[2:3], s[4:5]
	v_or_b32_e32 v4, v12, v4
	s_or_b32 s0, s1, s0
	v_add_co_ci_u32_e64 v5, s0, 0, v5, s0
	v_cmp_ne_u32_e64 s0, 0, v15
	v_cndmask_b32_e64 v12, 0, 1, s0
	v_cmp_gt_i32_e64 s0, 1, v17
	v_and_or_b32 v0, 0x1ff, v1, v0
	v_cndmask_b32_e64 v6, v6, v4, s0
	v_cmp_gt_i32_e64 s0, 31, v18
	v_lshl_or_b32 v12, v12, 9, 0x7c00
	v_and_or_b32 v2, 0x1ff, v3, v2
	v_cmp_ne_u32_e64 s1, 0, v0
	v_cndmask_b32_e64 v14, 0x7c00, v5, s0
	v_add_co_u32 v4, s0, v10, s10
	v_add_co_ci_u32_e64 v5, s0, s11, v11, s0
	v_cmp_eq_u32_e64 s0, 0x40f, v18
	v_and_b32_e32 v15, 7, v6
	v_cndmask_b32_e64 v0, 0, 1, s1
	v_cmp_ne_u32_e64 s1, 0, v2
	v_bfe_u32 v18, v1, 20, 11
	v_cndmask_b32_e64 v12, v14, v12, s0
	v_lshrrev_b32_e32 v14, 8, v1
	v_cmp_lt_i32_e64 s0, 5, v15
	v_cndmask_b32_e64 v2, 0, 1, s1
	v_cmp_eq_u32_e64 s1, 3, v15
	v_lshrrev_b32_e32 v6, 2, v6
	v_lshrrev_b32_e32 v21, 8, v3
	v_bfe_u32 v23, v3, 20, 11
	v_and_or_b32 v0, 0xffe, v14, v0
	v_sub_nc_u32_e32 v14, 0x3f1, v18
	s_or_b32 s0, s1, s0
	v_and_or_b32 v2, 0xffe, v21, v2
	v_add_co_ci_u32_e64 v6, s0, 0, v6, s0
	v_sub_nc_u32_e32 v15, 0x3f1, v23
	v_or_b32_e32 v21, 0x1000, v0
	v_med3_i32 v14, v14, 0, 13
	v_cmp_ne_u32_e64 s0, 0, v19
	v_or_b32_e32 v24, 0x1000, v2
	v_med3_i32 v15, v15, 0, 13
	v_and_or_b32 v12, 0x8000, v16, v12
	v_lshrrev_b32_e32 v25, v14, v21
	v_cndmask_b32_e64 v19, 0, 1, s0
	v_cmp_gt_i32_e64 s0, 31, v17
	v_lshrrev_b32_e32 v26, v15, v24
	v_lshrrev_b32_e32 v1, 16, v1
	v_lshlrev_b32_e32 v14, v14, v25
	v_lshl_or_b32 v19, v19, 9, 0x7c00
	v_cndmask_b32_e64 v6, 0x7c00, v6, s0
	v_cmp_eq_u32_e64 s0, 0x40f, v17
	v_lshlrev_b32_e32 v15, v15, v26
	v_add_nc_u32_e32 v17, 0xfffffc10, v18
	v_add_nc_u32_e32 v18, 0xfffffc10, v23
	v_lshrrev_b32_e32 v3, 16, v3
	v_cndmask_b32_e64 v6, v6, v19, s0
	v_cmp_ne_u32_e64 s0, v14, v21
	v_lshl_or_b32 v19, v17, 12, v0
	v_lshl_or_b32 v21, v18, 12, v2
	v_and_b32_e32 v12, 0xffff, v12
	v_and_or_b32 v6, 0x8000, v7, v6
	v_cndmask_b32_e64 v14, 0, 1, s0
	v_cmp_ne_u32_e64 s0, v15, v24
	v_lshl_or_b32 v6, v6, 16, v12
	v_or_b32_e32 v14, v25, v14
	v_cndmask_b32_e64 v15, 0, 1, s0
	v_cmp_gt_i32_e64 s0, 1, v17
	v_or_b32_e32 v15, v26, v15
	v_cndmask_b32_e64 v14, v19, v14, s0
	v_cmp_gt_i32_e64 s0, 1, v18
	v_cndmask_b32_e64 v7, v21, v15, s0
	v_and_b32_e32 v15, 7, v14
	s_mul_hi_u32 s0, s8, 0xffffffeb
	v_lshrrev_b32_e32 v14, 2, v14
	s_sub_i32 s3, s0, s8
	v_and_b32_e32 v16, 7, v7
	v_cmp_lt_i32_e64 s0, 5, v15
	v_cmp_eq_u32_e64 s1, 3, v15
	s_add_i32 s7, s3, s2
	v_lshrrev_b32_e32 v7, 2, v7
	v_cmp_lt_i32_e64 s2, 5, v16
	v_cmp_eq_u32_e64 s3, 3, v16
	s_or_b32 s0, s1, s0
	s_lshl_b64 s[8:9], s[6:7], 2
	v_add_co_ci_u32_e64 v14, s0, 0, v14, s0
	v_cmp_ne_u32_e64 s0, 0, v0
	v_cndmask_b32_e64 v0, 0, 1, s0
	s_or_b32 s0, s3, s2
	v_add_co_ci_u32_e64 v7, s0, 0, v7, s0
	v_cmp_ne_u32_e64 s0, 0, v2
	v_lshl_or_b32 v0, v0, 9, 0x7c00
	v_cndmask_b32_e64 v2, 0, 1, s0
	v_cmp_gt_i32_e64 s0, 31, v17
	v_lshl_or_b32 v2, v2, 9, 0x7c00
	v_cndmask_b32_e64 v14, 0x7c00, v14, s0
	v_cmp_gt_i32_e64 s0, 31, v18
	v_cndmask_b32_e64 v7, 0x7c00, v7, s0
	v_cmp_eq_u32_e64 s0, 0x40f, v17
	v_cndmask_b32_e64 v0, v14, v0, s0
	v_cmp_eq_u32_e64 s0, 0x40f, v18
	v_and_or_b32 v0, 0x8000, v1, v0
	v_cndmask_b32_e64 v2, v7, v2, s0
	v_and_b32_e32 v0, 0xffff, v0
	v_and_or_b32 v1, 0x8000, v3, v2
	v_add_co_u32 v2, s0, v4, s8
	v_add_co_ci_u32_e64 v3, s0, s9, v5, s0
	v_lshl_or_b32 v7, v1, 16, v0
	v_add_co_u32 v0, s0, v2, s10
	v_add_co_ci_u32_e64 v1, s0, s11, v3, s0
	global_store_dword v[10:11], v13, off
	global_store_dword v[4:5], v22, off
	global_store_dword v[2:3], v6, off
	global_store_dword v[0:1], v7, off
	s_and_b32 exec_lo, exec_lo, vcc_lo
	s_cbranch_execz .LBB0_23
; %bb.22:
	s_clause 0x1
	global_load_dword v4, v[8:9], off offset:112
	global_load_dword v5, v[8:9], off offset:252
	ds_read2_b32 v[2:3], v20 offset0:28 offset1:63
	s_waitcnt lgkmcnt(0)
	v_lshrrev_b32_e32 v6, 16, v2
	v_lshrrev_b32_e32 v8, 16, v3
	s_waitcnt vmcnt(1)
	v_mul_f16_sdwa v7, v6, v4 dst_sel:DWORD dst_unused:UNUSED_PAD src0_sel:DWORD src1_sel:WORD_1
	v_mul_f16_sdwa v9, v2, v4 dst_sel:DWORD dst_unused:UNUSED_PAD src0_sel:DWORD src1_sel:WORD_1
	s_waitcnt vmcnt(0)
	v_mul_f16_sdwa v10, v8, v5 dst_sel:DWORD dst_unused:UNUSED_PAD src0_sel:DWORD src1_sel:WORD_1
	v_fmac_f16_e32 v7, v2, v4
	v_fma_f16 v2, v4, v6, -v9
	v_mul_f16_sdwa v6, v3, v5 dst_sel:DWORD dst_unused:UNUSED_PAD src0_sel:DWORD src1_sel:WORD_1
	v_fmac_f16_e32 v10, v3, v5
	v_cvt_f32_f16_e32 v4, v7
	v_cvt_f32_f16_e32 v7, v2
	v_fma_f16 v6, v5, v8, -v6
	v_cvt_f32_f16_e32 v8, v10
	v_cvt_f64_f32_e32 v[2:3], v4
	v_cvt_f64_f32_e32 v[4:5], v7
	v_cvt_f32_f16_e32 v9, v6
	v_cvt_f64_f32_e32 v[6:7], v8
	v_cvt_f64_f32_e32 v[8:9], v9
	v_mul_f64 v[2:3], v[2:3], s[4:5]
	v_mul_f64 v[4:5], v[4:5], s[4:5]
	;; [unrolled: 1-line block ×4, first 2 shown]
	v_and_or_b32 v2, 0x1ff, v3, v2
	v_and_or_b32 v4, 0x1ff, v5, v4
	v_lshrrev_b32_e32 v10, 8, v3
	v_and_or_b32 v6, 0x1ff, v7, v6
	v_bfe_u32 v11, v3, 20, 11
	v_cmp_ne_u32_e32 vcc_lo, 0, v2
	v_lshrrev_b32_e32 v12, 8, v5
	v_and_or_b32 v8, 0x1ff, v9, v8
	v_bfe_u32 v13, v5, 20, 11
	v_lshrrev_b32_e32 v14, 8, v7
	v_cndmask_b32_e64 v2, 0, 1, vcc_lo
	v_cmp_ne_u32_e32 vcc_lo, 0, v4
	v_bfe_u32 v15, v7, 20, 11
	v_bfe_u32 v17, v9, 20, 11
	v_sub_nc_u32_e32 v18, 0x3f1, v11
	v_and_or_b32 v2, 0xffe, v10, v2
	v_cndmask_b32_e64 v4, 0, 1, vcc_lo
	v_cmp_ne_u32_e32 vcc_lo, 0, v6
	v_add_nc_u32_e32 v11, 0xfffffc10, v11
	v_sub_nc_u32_e32 v19, 0x3f1, v13
	v_lshrrev_b32_e32 v16, 8, v9
	v_and_or_b32 v4, 0xffe, v12, v4
	v_cndmask_b32_e64 v6, 0, 1, vcc_lo
	v_cmp_ne_u32_e32 vcc_lo, 0, v8
	v_add_nc_u32_e32 v13, 0xfffffc10, v13
	v_sub_nc_u32_e32 v20, 0x3f1, v15
	v_sub_nc_u32_e32 v21, 0x3f1, v17
	v_med3_i32 v10, v18, 0, 13
	v_cndmask_b32_e64 v8, 0, 1, vcc_lo
	v_cmp_ne_u32_e32 vcc_lo, 0, v2
	v_med3_i32 v12, v19, 0, 13
	v_and_or_b32 v6, 0xffe, v14, v6
	v_or_b32_e32 v18, 0x1000, v2
	v_lshl_or_b32 v19, v11, 12, v2
	v_cndmask_b32_e64 v2, 0, 1, vcc_lo
	v_cmp_ne_u32_e32 vcc_lo, 0, v4
	v_add_nc_u32_e32 v15, 0xfffffc10, v15
	v_med3_i32 v14, v20, 0, 13
	v_and_or_b32 v8, 0xffe, v16, v8
	v_med3_i32 v16, v21, 0, 13
	v_or_b32_e32 v20, 0x1000, v4
	v_lshl_or_b32 v21, v13, 12, v4
	v_cndmask_b32_e64 v4, 0, 1, vcc_lo
	v_cmp_ne_u32_e32 vcc_lo, 0, v6
	v_lshrrev_b32_e32 v26, v10, v18
	v_add_nc_u32_e32 v17, 0xfffffc10, v17
	v_or_b32_e32 v22, 0x1000, v6
	v_lshl_or_b32 v23, v15, 12, v6
	v_cndmask_b32_e64 v6, 0, 1, vcc_lo
	v_cmp_ne_u32_e32 vcc_lo, 0, v8
	v_lshrrev_b32_e32 v27, v12, v20
	v_lshlrev_b32_e32 v10, v10, v26
	v_or_b32_e32 v24, 0x1000, v8
	v_lshl_or_b32 v25, v17, 12, v8
	v_cndmask_b32_e64 v8, 0, 1, vcc_lo
	v_lshrrev_b32_e32 v28, v14, v22
	v_lshlrev_b32_e32 v12, v12, v27
	v_cmp_ne_u32_e32 vcc_lo, v10, v18
	v_lshrrev_b32_e32 v29, v16, v24
	v_lshl_or_b32 v2, v2, 9, 0x7c00
	v_lshlrev_b32_e32 v14, v14, v28
	v_lshl_or_b32 v6, v6, 9, 0x7c00
	v_cndmask_b32_e64 v10, 0, 1, vcc_lo
	v_cmp_ne_u32_e32 vcc_lo, v12, v20
	v_lshlrev_b32_e32 v16, v16, v29
	v_lshl_or_b32 v4, v4, 9, 0x7c00
	v_lshrrev_b32_e32 v3, 16, v3
	v_or_b32_e32 v10, v26, v10
	v_cndmask_b32_e64 v12, 0, 1, vcc_lo
	v_cmp_ne_u32_e32 vcc_lo, v14, v22
	v_lshrrev_b32_e32 v7, 16, v7
	v_lshl_or_b32 v8, v8, 9, 0x7c00
	v_lshrrev_b32_e32 v5, 16, v5
	v_or_b32_e32 v12, v27, v12
	v_cndmask_b32_e64 v14, 0, 1, vcc_lo
	v_cmp_ne_u32_e32 vcc_lo, v16, v24
	v_lshrrev_b32_e32 v9, 16, v9
	v_or_b32_e32 v14, v28, v14
	v_cndmask_b32_e64 v16, 0, 1, vcc_lo
	v_cmp_gt_i32_e32 vcc_lo, 1, v11
	v_or_b32_e32 v16, v29, v16
	v_cndmask_b32_e32 v10, v19, v10, vcc_lo
	v_cmp_gt_i32_e32 vcc_lo, 1, v13
	v_and_b32_e32 v18, 7, v10
	v_cndmask_b32_e32 v12, v21, v12, vcc_lo
	v_cmp_gt_i32_e32 vcc_lo, 1, v15
	v_lshrrev_b32_e32 v10, 2, v10
	v_cmp_eq_u32_e64 s0, 3, v18
	v_and_b32_e32 v19, 7, v12
	v_cndmask_b32_e32 v14, v23, v14, vcc_lo
	v_cmp_gt_i32_e32 vcc_lo, 1, v17
	v_lshrrev_b32_e32 v12, 2, v12
	v_cmp_lt_i32_e64 s1, 5, v19
	v_and_b32_e32 v20, 7, v14
	v_cndmask_b32_e32 v16, v25, v16, vcc_lo
	v_cmp_lt_i32_e32 vcc_lo, 5, v18
	v_cmp_eq_u32_e64 s2, 3, v19
	v_lshrrev_b32_e32 v14, 2, v14
	v_cmp_lt_i32_e64 s3, 5, v20
	v_and_b32_e32 v21, 7, v16
	s_or_b32 vcc_lo, s0, vcc_lo
	v_cmp_eq_u32_e64 s4, 3, v20
	v_add_co_ci_u32_e32 v10, vcc_lo, 0, v10, vcc_lo
	s_or_b32 vcc_lo, s2, s1
	v_cmp_lt_i32_e64 s5, 5, v21
	v_cmp_eq_u32_e64 s6, 3, v21
	v_add_co_ci_u32_e32 v12, vcc_lo, 0, v12, vcc_lo
	v_lshrrev_b32_e32 v16, 2, v16
	s_or_b32 vcc_lo, s4, s3
	v_add_co_ci_u32_e32 v14, vcc_lo, 0, v14, vcc_lo
	s_or_b32 vcc_lo, s6, s5
	v_add_co_ci_u32_e32 v16, vcc_lo, 0, v16, vcc_lo
	v_cmp_gt_i32_e32 vcc_lo, 31, v11
	v_cndmask_b32_e32 v10, 0x7c00, v10, vcc_lo
	v_cmp_gt_i32_e32 vcc_lo, 31, v13
	v_cndmask_b32_e32 v12, 0x7c00, v12, vcc_lo
	;; [unrolled: 2-line block ×4, first 2 shown]
	v_cmp_eq_u32_e32 vcc_lo, 0x40f, v11
	v_cndmask_b32_e32 v2, v10, v2, vcc_lo
	v_cmp_eq_u32_e32 vcc_lo, 0x40f, v15
	v_and_or_b32 v2, 0x8000, v3, v2
	v_cndmask_b32_e32 v6, v14, v6, vcc_lo
	v_cmp_eq_u32_e32 vcc_lo, 0x40f, v13
	v_and_or_b32 v3, 0x8000, v7, v6
	v_cndmask_b32_e32 v4, v12, v4, vcc_lo
	v_cmp_eq_u32_e32 vcc_lo, 0x40f, v17
	v_and_b32_e32 v6, 0xffff, v2
	v_and_b32_e32 v7, 0xffff, v3
	v_and_or_b32 v4, 0x8000, v5, v4
	v_cndmask_b32_e32 v8, v16, v8, vcc_lo
	v_add_co_u32 v0, vcc_lo, v0, s8
	v_add_co_ci_u32_e32 v1, vcc_lo, s9, v1, vcc_lo
	v_and_or_b32 v5, 0x8000, v9, v8
	v_add_co_u32 v2, vcc_lo, v0, s10
	v_lshl_or_b32 v4, v4, 16, v6
	v_add_co_ci_u32_e32 v3, vcc_lo, s11, v1, vcc_lo
	v_lshl_or_b32 v5, v5, 16, v7
	global_store_dword v[0:1], v4, off
	global_store_dword v[2:3], v5, off
.LBB0_23:
	s_endpgm
	.section	.rodata,"a",@progbits
	.p2align	6, 0x0
	.amdhsa_kernel bluestein_single_back_len70_dim1_half_op_CI_CI
		.amdhsa_group_segment_fixed_size 5040
		.amdhsa_private_segment_fixed_size 0
		.amdhsa_kernarg_size 104
		.amdhsa_user_sgpr_count 6
		.amdhsa_user_sgpr_private_segment_buffer 1
		.amdhsa_user_sgpr_dispatch_ptr 0
		.amdhsa_user_sgpr_queue_ptr 0
		.amdhsa_user_sgpr_kernarg_segment_ptr 1
		.amdhsa_user_sgpr_dispatch_id 0
		.amdhsa_user_sgpr_flat_scratch_init 0
		.amdhsa_user_sgpr_private_segment_size 0
		.amdhsa_wavefront_size32 1
		.amdhsa_uses_dynamic_stack 0
		.amdhsa_system_sgpr_private_segment_wavefront_offset 0
		.amdhsa_system_sgpr_workgroup_id_x 1
		.amdhsa_system_sgpr_workgroup_id_y 0
		.amdhsa_system_sgpr_workgroup_id_z 0
		.amdhsa_system_sgpr_workgroup_info 0
		.amdhsa_system_vgpr_workitem_id 0
		.amdhsa_next_free_vgpr 51
		.amdhsa_next_free_sgpr 18
		.amdhsa_reserve_vcc 1
		.amdhsa_reserve_flat_scratch 0
		.amdhsa_float_round_mode_32 0
		.amdhsa_float_round_mode_16_64 0
		.amdhsa_float_denorm_mode_32 3
		.amdhsa_float_denorm_mode_16_64 3
		.amdhsa_dx10_clamp 1
		.amdhsa_ieee_mode 1
		.amdhsa_fp16_overflow 0
		.amdhsa_workgroup_processor_mode 1
		.amdhsa_memory_ordered 1
		.amdhsa_forward_progress 0
		.amdhsa_shared_vgpr_count 0
		.amdhsa_exception_fp_ieee_invalid_op 0
		.amdhsa_exception_fp_denorm_src 0
		.amdhsa_exception_fp_ieee_div_zero 0
		.amdhsa_exception_fp_ieee_overflow 0
		.amdhsa_exception_fp_ieee_underflow 0
		.amdhsa_exception_fp_ieee_inexact 0
		.amdhsa_exception_int_div_zero 0
	.end_amdhsa_kernel
	.text
.Lfunc_end0:
	.size	bluestein_single_back_len70_dim1_half_op_CI_CI, .Lfunc_end0-bluestein_single_back_len70_dim1_half_op_CI_CI
                                        ; -- End function
	.section	.AMDGPU.csdata,"",@progbits
; Kernel info:
; codeLenInByte = 8428
; NumSgprs: 20
; NumVgprs: 51
; ScratchSize: 0
; MemoryBound: 0
; FloatMode: 240
; IeeeMode: 1
; LDSByteSize: 5040 bytes/workgroup (compile time only)
; SGPRBlocks: 2
; VGPRBlocks: 6
; NumSGPRsForWavesPerEU: 20
; NumVGPRsForWavesPerEU: 51
; Occupancy: 16
; WaveLimiterHint : 1
; COMPUTE_PGM_RSRC2:SCRATCH_EN: 0
; COMPUTE_PGM_RSRC2:USER_SGPR: 6
; COMPUTE_PGM_RSRC2:TRAP_HANDLER: 0
; COMPUTE_PGM_RSRC2:TGID_X_EN: 1
; COMPUTE_PGM_RSRC2:TGID_Y_EN: 0
; COMPUTE_PGM_RSRC2:TGID_Z_EN: 0
; COMPUTE_PGM_RSRC2:TIDIG_COMP_CNT: 0
	.text
	.p2alignl 6, 3214868480
	.fill 48, 4, 3214868480
	.type	__hip_cuid_50f068df955afde,@object ; @__hip_cuid_50f068df955afde
	.section	.bss,"aw",@nobits
	.globl	__hip_cuid_50f068df955afde
__hip_cuid_50f068df955afde:
	.byte	0                               ; 0x0
	.size	__hip_cuid_50f068df955afde, 1

	.ident	"AMD clang version 19.0.0git (https://github.com/RadeonOpenCompute/llvm-project roc-6.4.0 25133 c7fe45cf4b819c5991fe208aaa96edf142730f1d)"
	.section	".note.GNU-stack","",@progbits
	.addrsig
	.addrsig_sym __hip_cuid_50f068df955afde
	.amdgpu_metadata
---
amdhsa.kernels:
  - .args:
      - .actual_access:  read_only
        .address_space:  global
        .offset:         0
        .size:           8
        .value_kind:     global_buffer
      - .actual_access:  read_only
        .address_space:  global
        .offset:         8
        .size:           8
        .value_kind:     global_buffer
      - .actual_access:  read_only
        .address_space:  global
        .offset:         16
        .size:           8
        .value_kind:     global_buffer
      - .actual_access:  read_only
        .address_space:  global
        .offset:         24
        .size:           8
        .value_kind:     global_buffer
      - .actual_access:  read_only
        .address_space:  global
        .offset:         32
        .size:           8
        .value_kind:     global_buffer
      - .offset:         40
        .size:           8
        .value_kind:     by_value
      - .address_space:  global
        .offset:         48
        .size:           8
        .value_kind:     global_buffer
      - .address_space:  global
        .offset:         56
        .size:           8
        .value_kind:     global_buffer
      - .address_space:  global
        .offset:         64
        .size:           8
        .value_kind:     global_buffer
      - .address_space:  global
        .offset:         72
        .size:           8
        .value_kind:     global_buffer
      - .offset:         80
        .size:           4
        .value_kind:     by_value
      - .address_space:  global
        .offset:         88
        .size:           8
        .value_kind:     global_buffer
      - .address_space:  global
        .offset:         96
        .size:           8
        .value_kind:     global_buffer
    .group_segment_fixed_size: 5040
    .kernarg_segment_align: 8
    .kernarg_segment_size: 104
    .language:       OpenCL C
    .language_version:
      - 2
      - 0
    .max_flat_workgroup_size: 252
    .name:           bluestein_single_back_len70_dim1_half_op_CI_CI
    .private_segment_fixed_size: 0
    .sgpr_count:     20
    .sgpr_spill_count: 0
    .symbol:         bluestein_single_back_len70_dim1_half_op_CI_CI.kd
    .uniform_work_group_size: 1
    .uses_dynamic_stack: false
    .vgpr_count:     51
    .vgpr_spill_count: 0
    .wavefront_size: 32
    .workgroup_processor_mode: 1
amdhsa.target:   amdgcn-amd-amdhsa--gfx1030
amdhsa.version:
  - 1
  - 2
...

	.end_amdgpu_metadata
